;; amdgpu-corpus repo=triton-lang/triton kind=triton arch=gfx950 opt=O3 lang=triton
	.amdgcn_target "amdgcn-amd-amdhsa--gfx950"
	.amdhsa_code_object_version 5
	.text
	.globl	matmul_kernel                   ; -- Begin function matmul_kernel
	.p2align	8
	.type	matmul_kernel,@function
matmul_kernel:                          ; @matmul_kernel
.Lfunc_begin0:
	.cfi_sections .debug_frame
	.cfi_startproc
; %bb.94:
	.file	1 "/root/src/amdgpu-assembly/repos/triton-lang__triton-aot" "matmul.py"
	.loc	1 7 0 prologue_end              ; matmul.py:7:0
	s_load_dwordx2 s[2:3], s[0:1], 0x0
	s_load_dwordx8 s[4:11], s[0:1], 0x8
	s_load_dwordx4 s[12:15], s[0:1], 0x28
	s_waitcnt lgkmcnt(0)
	s_branch .LBB0_0
	.loc	1 0 0 is_stmt 0                 ; :0:0
.Ltmp0:
	.p2align	8
; %bb.95:
.LBB0_0:
.Ltmp1:
	.file	2 "/root/.local/lib/python3.13/site-packages/triton/language" "standard.py"
	.loc	2 43 17 is_stmt 1               ; standard.py:43:17 @[ matmul.py:14:27 ]
	s_add_i32 s17, s9, 63
	.loc	2 43 30 is_stmt 0               ; standard.py:43:30 @[ matmul.py:14:27 ]
	s_ashr_i32 s18, s17, 31
	s_lshr_b32 s18, s18, 26
	s_add_i32 s17, s17, s18
	s_ashr_i32 s17, s17, 6
.Ltmp2:
	.loc	1 15 38 is_stmt 1               ; matmul.py:15:38
	s_lshl_b32 s18, s17, 3
	.loc	1 16 22                         ; matmul.py:16:22
	s_abs_i32 s19, s18
	v_cvt_f32_u32_e32 v1, s19
.Ltmp3:
	.loc	2 43 17                         ; standard.py:43:17 @[ matmul.py:13:27 ]
	s_add_i32 s20, s8, 63
.Ltmp4:
	.loc	1 16 22                         ; matmul.py:16:22
	s_sub_i32 s22, 0, s19
.Ltmp5:
	.loc	2 43 30                         ; standard.py:43:30 @[ matmul.py:13:27 ]
	s_ashr_i32 s21, s20, 31
.Ltmp6:
	.loc	1 16 22                         ; matmul.py:16:22
	v_rcp_iflag_f32_e32 v1, v1
.Ltmp7:
	.loc	2 43 30                         ; standard.py:43:30 @[ matmul.py:13:27 ]
	s_lshr_b32 s21, s21, 26
	s_add_i32 s20, s20, s21
.Ltmp8:
	.loc	1 16 22                         ; matmul.py:16:22
	s_abs_i32 s21, s16
	v_mul_f32_e32 v1, 0x4f7ffffe, v1
	v_cvt_u32_f32_e32 v1, v1
	.loc	1 31 20                         ; matmul.py:31:20
	v_readfirstlane_b32 s24, v0
	.loc	1 16 22                         ; matmul.py:16:22
	s_xor_b32 s17, s16, s17
	.loc	1 41 21                         ; matmul.py:41:21
	s_and_b32 s30, s24, 0xc0
	.loc	1 16 22                         ; matmul.py:16:22
	v_readfirstlane_b32 s23, v1
	s_mul_i32 s22, s22, s23
	s_mul_hi_u32 s22, s23, s22
	s_add_i32 s23, s23, s22
	s_mul_hi_u32 s22, s21, s23
	s_mul_i32 s23, s22, s19
	s_sub_i32 s21, s21, s23
.Ltmp9:
	.loc	2 43 30                         ; standard.py:43:30 @[ matmul.py:13:27 ]
	s_ashr_i32 s20, s20, 6
.Ltmp10:
	.loc	1 16 22                         ; matmul.py:16:22
	s_ashr_i32 s17, s17, 31
	s_add_i32 s23, s22, 1
	s_sub_i32 s25, s21, s19
	s_cmp_ge_u32 s21, s19
	s_cselect_b32 s22, s23, s22
	s_cselect_b32 s21, s25, s21
	s_add_i32 s23, s22, 1
	s_cmp_ge_u32 s21, s19
	s_cselect_b32 s19, s23, s22
	s_xor_b32 s19, s19, s17
	s_sub_i32 s17, s19, s17
	.loc	1 17 29                         ; matmul.py:17:29
	s_lshl_b32 s19, s17, 3
	.loc	1 18 35                         ; matmul.py:18:35
	s_sub_i32 s20, s20, s19
	.loc	1 18 48 is_stmt 0               ; matmul.py:18:48
	s_min_i32 s20, s20, 8
	.loc	1 20 40 is_stmt 1               ; matmul.py:20:40
	s_abs_i32 s21, s20
	v_cvt_f32_u32_e32 v1, s21
	s_sub_i32 s22, 0, s21
	.loc	1 19 34                         ; matmul.py:19:34
	s_mul_i32 s17, s17, s18
	s_sub_i32 s16, s16, s17
	.loc	1 20 40                         ; matmul.py:20:40
	v_rcp_iflag_f32_e32 v1, v1
	s_abs_i32 s18, s16
	s_xor_b32 s17, s16, s20
	s_ashr_i32 s17, s17, 31
	v_mul_f32_e32 v1, 0x4f7ffffe, v1
	v_cvt_u32_f32_e32 v1, v1
	.loc	1 22 51                         ; matmul.py:22:51
	v_and_b32_e32 v2, 63, v0
	v_or_b32_e32 v34, s30, v2
	v_lshrrev_b32_e32 v3, 4, v34
	.loc	1 20 40                         ; matmul.py:20:40
	v_readfirstlane_b32 s23, v1
	s_mul_i32 s22, s22, s23
	s_mul_hi_u32 s22, s23, s22
	s_add_i32 s23, s23, s22
	s_mul_hi_u32 s22, s18, s23
	s_mul_i32 s23, s22, s21
	s_sub_i32 s18, s18, s23
	s_add_i32 s23, s22, 1
	s_sub_i32 s25, s18, s21
	s_cmp_ge_u32 s18, s21
	s_cselect_b32 s22, s23, s22
	s_cselect_b32 s18, s25, s18
	s_add_i32 s23, s22, 1
	s_cmp_ge_u32 s18, s21
	s_cselect_b32 s18, s23, s22
	.loc	1 22 68                         ; matmul.py:22:68
	s_abs_i32 s25, s8
	v_cvt_f32_u32_e32 v1, s25
	.loc	1 20 40                         ; matmul.py:20:40
	s_xor_b32 s18, s18, s17
	s_sub_i32 s18, s18, s17
	.loc	1 19 54                         ; matmul.py:19:54
	s_mul_i32 s17, s18, s20
	.loc	1 22 68                         ; matmul.py:22:68
	v_rcp_iflag_f32_e32 v1, v1
	.loc	1 19 54                         ; matmul.py:19:54
	s_sub_i32 s16, s16, s17
	.loc	1 19 27 is_stmt 0               ; matmul.py:19:27
	s_add_i32 s16, s16, s19
	.loc	1 22 23 is_stmt 1               ; matmul.py:22:23
	s_lshl_b32 s22, s16, 6
	.loc	1 22 68 is_stmt 0               ; matmul.py:22:68
	v_mul_f32_e32 v1, 0x4f7ffffe, v1
	v_cvt_u32_f32_e32 v1, v1
	s_bfe_i32 s26, s16, 0x10019
	s_sub_i32 s16, 0, s25
	.loc	1 22 38                         ; matmul.py:22:38
	v_or_b32_e32 v3, s22, v3
	.loc	1 22 68                         ; matmul.py:22:68
	v_mul_lo_u32 v5, s16, v1
	v_add_u32_e32 v3, s26, v3
	v_mul_hi_u32 v5, v1, v5
	v_xor_b32_e32 v4, s26, v3
	v_add_u32_e32 v1, v1, v5
	v_mul_hi_u32 v5, v4, v1
	v_mul_lo_u32 v5, v5, s25
	v_sub_u32_e32 v4, v4, v5
	v_subrev_u32_e32 v5, s25, v4
	v_cmp_le_u32_e32 vcc, s25, v4
	.loc	1 23 68 is_stmt 1               ; matmul.py:23:68
	s_abs_i32 s27, s9
	.loc	1 23 23 is_stmt 0               ; matmul.py:23:23
	s_lshl_b32 s23, s18, 6
	.loc	1 22 68 is_stmt 1               ; matmul.py:22:68
	v_cndmask_b32_e32 v4, v4, v5, vcc
	v_subrev_u32_e32 v5, s25, v4
	v_cmp_le_u32_e32 vcc, s25, v4
	.loc	1 25 60                         ; matmul.py:25:60
	v_and_b32_e32 v43, 15, v0
	.loc	1 23 38                         ; matmul.py:23:38
	v_or_b32_e32 v2, s23, v2
	.loc	1 22 68                         ; matmul.py:22:68
	v_cndmask_b32_e32 v4, v4, v5, vcc
	v_xor_b32_e32 v4, s26, v4
	v_subrev_u32_e32 v10, s26, v4
	v_add_u32_e32 v4, 16, v3
	v_xor_b32_e32 v14, s26, v4
	v_mad_u64_u32 v[4:5], s[16:17], v14, v1, 0
	v_add_u32_e32 v4, 32, v3
	v_xor_b32_e32 v13, s26, v4
	.loc	1 23 68                         ; matmul.py:23:68
	v_cvt_f32_u32_e32 v4, s27
	.loc	1 22 68                         ; matmul.py:22:68
	v_add_u32_e32 v3, 48, v3
	v_xor_b32_e32 v12, s26, v3
	v_mad_u64_u32 v[6:7], s[16:17], v13, v1, 0
	v_mad_u64_u32 v[8:9], s[16:17], v12, v1, 0
	.loc	1 23 68                         ; matmul.py:23:68
	v_rcp_iflag_f32_e32 v1, v4
	s_bfe_i32 s28, s18, 0x10019
	s_sub_i32 s16, 0, s27
	.loc	1 25 71                         ; matmul.py:25:71
	v_mul_lo_u32 v8, s12, v43
	.loc	1 23 68                         ; matmul.py:23:68
	v_mul_f32_e32 v1, 0x4f7ffffe, v1
	v_cvt_u32_f32_e32 v3, v1
.Ltmp11:
	.loc	2 43 17                         ; standard.py:43:17 @[ matmul.py:29:33 ]
	s_add_i32 s29, s10, 15
.Ltmp12:
	.loc	1 23 68                         ; matmul.py:23:68
	v_add_u32_e32 v1, s28, v2
	.loc	1 29 22                         ; matmul.py:29:22
	s_cmp_gt_i32 s29, 15
	.loc	1 23 68                         ; matmul.py:23:68
	v_mul_lo_u32 v2, s16, v3
	.loc	1 25 53                         ; matmul.py:25:53
	v_mad_u64_u32 v[18:19], s[16:17], v10, s11, v[8:9]
	.loc	1 23 68                         ; matmul.py:23:68
	v_mul_hi_u32 v2, v3, v2
	.loc	1 25 22                         ; matmul.py:25:22
	v_ashrrev_i32_e32 v19, 31, v18
	.loc	1 29 22                         ; matmul.py:29:22
	s_cselect_b64 s[16:17], -1, 0
	.loc	1 30 51                         ; matmul.py:30:51
	v_cmp_gt_i32_e32 vcc, s10, v43
	.loc	1 23 68                         ; matmul.py:23:68
	v_xor_b32_e32 v1, s28, v1
	v_add_u32_e32 v4, v3, v2
	.loc	1 25 22                         ; matmul.py:25:22
	v_lshl_add_u64 v[2:3], v[18:19], 2, s[2:3]
	.loc	1 29 22                         ; matmul.py:29:22
	s_and_b64 s[18:19], vcc, s[16:17]
	v_mov_b32_e32 v35, 0
	v_mov_b32_e32 v36, 0
	.loc	1 30 20                         ; matmul.py:30:20
	s_and_saveexec_b64 s[20:21], s[18:19]
	s_cbranch_execz .LBB0_2
; %bb.1:
	global_load_dword v36, v[2:3], off
.LBB0_2:
	.loc	1 0 20 is_stmt 0                ; matmul.py:0:20
	s_or_b64 exec, exec, s[20:21]
	v_mad_u64_u32 v[10:11], s[20:21], v1, v4, 0
	.loc	1 22 68 is_stmt 1               ; matmul.py:22:68
	v_mul_lo_u32 v4, v5, s25
	v_sub_u32_e32 v4, v14, v4
	v_subrev_u32_e32 v5, s25, v4
	v_cmp_le_u32_e32 vcc, s25, v4
	s_nop 1
	v_cndmask_b32_e32 v4, v4, v5, vcc
	v_subrev_u32_e32 v5, s25, v4
	v_cmp_le_u32_e32 vcc, s25, v4
	s_nop 1
	v_cndmask_b32_e32 v4, v4, v5, vcc
	v_xor_b32_e32 v4, s26, v4
	v_subrev_u32_e32 v4, s26, v4
	.loc	1 25 53                         ; matmul.py:25:53
	v_mad_u64_u32 v[20:21], s[20:21], v4, s11, v[8:9]
	.loc	1 25 22 is_stmt 0               ; matmul.py:25:22
	v_ashrrev_i32_e32 v21, 31, v20
	v_lshl_add_u64 v[4:5], v[20:21], 2, s[2:3]
	.loc	1 30 20 is_stmt 1               ; matmul.py:30:20
	s_and_saveexec_b64 s[20:21], s[18:19]
	s_cbranch_execz .LBB0_4
; %bb.3:
	global_load_dword v35, v[4:5], off
.LBB0_4:
	.loc	1 0 20 is_stmt 0                ; matmul.py:0:20
	s_or_b64 exec, exec, s[20:21]
	.loc	1 22 68 is_stmt 1               ; matmul.py:22:68
	v_mul_lo_u32 v6, v7, s25
	v_sub_u32_e32 v6, v13, v6
	v_subrev_u32_e32 v7, s25, v6
	v_cmp_le_u32_e32 vcc, s25, v6
	v_mov_b32_e32 v37, 0
	v_mov_b32_e32 v38, 0
	v_cndmask_b32_e32 v6, v6, v7, vcc
	v_subrev_u32_e32 v7, s25, v6
	v_cmp_le_u32_e32 vcc, s25, v6
	s_nop 1
	v_cndmask_b32_e32 v6, v6, v7, vcc
	v_xor_b32_e32 v6, s26, v6
	v_subrev_u32_e32 v6, s26, v6
	.loc	1 25 53                         ; matmul.py:25:53
	v_mad_u64_u32 v[22:23], s[20:21], v6, s11, v[8:9]
	.loc	1 25 22 is_stmt 0               ; matmul.py:25:22
	v_ashrrev_i32_e32 v23, 31, v22
	v_lshl_add_u64 v[6:7], v[22:23], 2, s[2:3]
	.loc	1 30 20 is_stmt 1               ; matmul.py:30:20
	s_and_saveexec_b64 s[20:21], s[18:19]
	s_cbranch_execz .LBB0_6
; %bb.5:
	global_load_dword v38, v[6:7], off
.LBB0_6:
	.loc	1 0 20 is_stmt 0                ; matmul.py:0:20
	s_or_b64 exec, exec, s[20:21]
	.loc	1 22 68 is_stmt 1               ; matmul.py:22:68
	v_mul_lo_u32 v9, v9, s25
	v_sub_u32_e32 v9, v12, v9
	v_subrev_u32_e32 v10, s25, v9
	v_cmp_le_u32_e32 vcc, s25, v9
	s_nop 1
	v_cndmask_b32_e32 v9, v9, v10, vcc
	v_subrev_u32_e32 v10, s25, v9
	v_cmp_le_u32_e32 vcc, s25, v9
	s_nop 1
	v_cndmask_b32_e32 v9, v9, v10, vcc
	v_xor_b32_e32 v9, s26, v9
	v_subrev_u32_e32 v9, s26, v9
	.loc	1 25 53                         ; matmul.py:25:53
	v_mad_u64_u32 v[24:25], s[20:21], v9, s11, v[8:9]
	.loc	1 25 22 is_stmt 0               ; matmul.py:25:22
	v_ashrrev_i32_e32 v25, 31, v24
	v_lshl_add_u64 v[8:9], v[24:25], 2, s[2:3]
	.loc	1 30 20 is_stmt 1               ; matmul.py:30:20
	s_and_saveexec_b64 s[20:21], s[18:19]
	s_cbranch_execz .LBB0_8
; %bb.7:
	global_load_dword v37, v[8:9], off
.LBB0_8:
	.loc	1 0 20 is_stmt 0                ; matmul.py:0:20
	s_or_b64 exec, exec, s[20:21]
	.loc	1 23 68 is_stmt 1               ; matmul.py:23:68
	v_mul_lo_u32 v10, v11, s27
	v_sub_u32_e32 v1, v1, v10
	v_subrev_u32_e32 v10, s27, v1
	v_cmp_le_u32_e32 vcc, s27, v1
	.loc	1 26 29                         ; matmul.py:26:29
	s_lshr_b32 s25, s30, 6
	.loc	1 26 40 is_stmt 0               ; matmul.py:26:40
	s_mul_i32 s11, s25, s13
	.loc	1 23 68 is_stmt 1               ; matmul.py:23:68
	v_cndmask_b32_e32 v1, v1, v10, vcc
	v_subrev_u32_e32 v10, s27, v1
	v_cmp_le_u32_e32 vcc, s27, v1
	.loc	1 31 51                         ; matmul.py:31:51
	s_cmp_ge_i32 s25, s10
	s_cselect_b64 s[20:21], -1, 0
	.loc	1 23 68                         ; matmul.py:23:68
	v_cndmask_b32_e32 v1, v1, v10, vcc
	v_xor_b32_e32 v1, s28, v1
	v_subrev_u32_e32 v1, s28, v1
	.loc	1 26 71                         ; matmul.py:26:71
	v_mul_lo_u32 v1, v1, s14
	.loc	1 26 52 is_stmt 0               ; matmul.py:26:52
	v_add_u32_e32 v26, s11, v1
	.loc	1 29 22 is_stmt 1               ; matmul.py:29:22
	s_xor_b64 s[18:19], s[16:17], -1
	.loc	1 26 22                         ; matmul.py:26:22
	v_ashrrev_i32_e32 v27, 31, v26
	.loc	1 31 20                         ; matmul.py:31:20
	s_or_b64 s[20:21], s[18:19], s[20:21]
	.loc	1 26 22                         ; matmul.py:26:22
	v_lshl_add_u64 v[10:11], v[26:27], 2, s[4:5]
	.loc	1 31 20                         ; matmul.py:31:20
	s_and_b64 vcc, exec, s[20:21]
	s_cbranch_vccnz .LBB0_10
; %bb.9:
	global_load_dword v39, v[10:11], off
	s_branch .LBB0_11
.LBB0_10:
	.loc	1 0 20 is_stmt 0                ; matmul.py:0:20
	v_mov_b32_e32 v39, 0
.LBB0_11:
	.loc	1 26 29 is_stmt 1               ; matmul.py:26:29
	s_or_b32 s26, s25, 4
	.loc	1 31 51                         ; matmul.py:31:51
	s_cmp_ge_i32 s26, s10
	.loc	1 26 52                         ; matmul.py:26:52
	v_lshl_add_u32 v28, s13, 2, v26
	.loc	1 31 51                         ; matmul.py:31:51
	s_cselect_b64 s[20:21], -1, 0
	.loc	1 26 22                         ; matmul.py:26:22
	v_ashrrev_i32_e32 v29, 31, v28
	.loc	1 31 20                         ; matmul.py:31:20
	s_or_b64 s[20:21], s[18:19], s[20:21]
	.loc	1 26 22                         ; matmul.py:26:22
	v_lshl_add_u64 v[12:13], v[28:29], 2, s[4:5]
	.loc	1 31 20                         ; matmul.py:31:20
	s_and_b64 vcc, exec, s[20:21]
	s_cbranch_vccnz .LBB0_13
; %bb.12:
	global_load_dword v40, v[12:13], off
	s_branch .LBB0_14
.LBB0_13:
	.loc	1 0 20 is_stmt 0                ; matmul.py:0:20
	v_mov_b32_e32 v40, 0
.LBB0_14:
	.loc	1 26 29 is_stmt 1               ; matmul.py:26:29
	s_or_b32 s27, s25, 8
	.loc	1 31 51                         ; matmul.py:31:51
	s_cmp_ge_i32 s27, s10
	.loc	1 26 52                         ; matmul.py:26:52
	v_lshl_add_u32 v32, s13, 3, v26
	.loc	1 31 51                         ; matmul.py:31:51
	s_cselect_b64 s[20:21], -1, 0
	.loc	1 26 22                         ; matmul.py:26:22
	v_ashrrev_i32_e32 v33, 31, v32
	.loc	1 31 20                         ; matmul.py:31:20
	s_or_b64 s[20:21], s[18:19], s[20:21]
	.loc	1 26 22                         ; matmul.py:26:22
	v_lshl_add_u64 v[14:15], v[32:33], 2, s[4:5]
	.loc	1 31 20                         ; matmul.py:31:20
	s_and_b64 vcc, exec, s[20:21]
	s_cbranch_vccnz .LBB0_16
; %bb.15:
	global_load_dword v41, v[14:15], off
	s_branch .LBB0_17
.LBB0_16:
	.loc	1 0 20 is_stmt 0                ; matmul.py:0:20
	v_mov_b32_e32 v41, 0
.LBB0_17:
	.loc	1 26 29 is_stmt 1               ; matmul.py:26:29
	s_or_b32 s28, s25, 12
	.loc	1 26 52 is_stmt 0               ; matmul.py:26:52
	v_mad_u64_u32 v[30:31], s[20:21], s13, 12, v[26:27]
	.loc	1 31 51 is_stmt 1               ; matmul.py:31:51
	s_cmp_ge_i32 s28, s10
	s_cselect_b64 s[20:21], -1, 0
	.loc	1 26 22                         ; matmul.py:26:22
	v_ashrrev_i32_e32 v31, 31, v30
	.loc	1 31 20                         ; matmul.py:31:20
	s_or_b64 s[18:19], s[18:19], s[20:21]
	.loc	1 26 22                         ; matmul.py:26:22
	v_lshl_add_u64 v[16:17], v[30:31], 2, s[4:5]
	.loc	1 31 20                         ; matmul.py:31:20
	s_and_b64 vcc, exec, s[18:19]
	s_cbranch_vccnz .LBB0_19
; %bb.18:
	global_load_dword v47, v[16:17], off
	s_branch .LBB0_20
.LBB0_19:
	.loc	1 0 20 is_stmt 0                ; matmul.py:0:20
	v_mov_b32_e32 v47, 0
.LBB0_20:
	.loc	1 30 20 is_stmt 1               ; matmul.py:30:20
	v_lshlrev_b32_e32 v34, 2, v34
	s_lshr_b32 s11, s30, 4
	.loc	1 22 51                         ; matmul.py:22:51
	s_and_b32 s14, s24, 0x80
	v_and_b32_e32 v44, 32, v0
	s_and_b32 s24, s24, 64
	.loc	1 30 20                         ; matmul.py:30:20
	v_xor_b32_e32 v45, s11, v34
	.loc	1 22 51                         ; matmul.py:22:51
	v_and_b32_e32 v1, 31, v0
	v_lshrrev_b32_e32 v42, 3, v44
	.loc	1 30 20                         ; matmul.py:30:20
	v_add_u32_e32 v45, 0, v45
	.loc	1 31 20                         ; matmul.py:31:20
	v_add_u32_e32 v46, 0, v34
	.loc	1 29 22                         ; matmul.py:29:22
	s_cmp_lt_i32 s29, 32
	.loc	1 30 20                         ; matmul.py:30:20
	s_waitcnt vmcnt(0)
	ds_write2st64_b32 v45, v36, v35 offset1:4
	ds_write2st64_b32 v45, v38, v37 offset0:8 offset1:12
	.loc	1 31 20                         ; matmul.py:31:20
	ds_write2st64_b32 v46, v39, v40 offset0:16 offset1:20
	ds_write2st64_b32 v46, v41, v47 offset0:24 offset1:28
	.loc	1 29 22                         ; matmul.py:29:22
	s_cbranch_scc1 .LBB0_34
; %bb.21:                               ; %.lr.ph
	.loc	1 33 33                         ; matmul.py:33:33
	s_lshl_b32 s18, s12, 4
	.loc	1 30 55                         ; matmul.py:30:55
	s_add_i32 s11, s10, -16
	s_ashr_i32 s19, s18, 31
	.loc	1 30 51 is_stmt 0               ; matmul.py:30:51
	v_cmp_gt_u32_e32 vcc, s11, v43
	v_mov_b32_e32 v50, 0
	v_mov_b32_e32 v51, 0
	.loc	1 30 20                         ; matmul.py:30:20
	s_and_saveexec_b64 s[20:21], vcc
	s_cbranch_execz .LBB0_23
; %bb.22:
	.loc	1 33 18 is_stmt 1               ; matmul.py:33:18
	v_lshl_add_u64 v[2:3], s[18:19], 2, v[2:3]
	.loc	1 30 20                         ; matmul.py:30:20
	global_load_dword v51, v[2:3], off
.LBB0_23:
	.loc	1 0 20 is_stmt 0                ; matmul.py:0:20
	s_or_b64 exec, exec, s[20:21]
	.loc	1 30 20                         ; matmul.py:30:20
	s_and_saveexec_b64 s[20:21], vcc
	s_cbranch_execz .LBB0_25
; %bb.24:
	.loc	1 33 18 is_stmt 1               ; matmul.py:33:18
	v_lshl_add_u64 v[2:3], s[18:19], 2, v[4:5]
	.loc	1 30 20                         ; matmul.py:30:20
	global_load_dword v50, v[2:3], off
.LBB0_25:
	.loc	1 0 20 is_stmt 0                ; matmul.py:0:20
	s_or_b64 exec, exec, s[20:21]
	v_mov_b32_e32 v52, 0
	v_mov_b32_e32 v53, 0
	.loc	1 30 20                         ; matmul.py:30:20
	s_and_saveexec_b64 s[20:21], vcc
	s_cbranch_execz .LBB0_27
; %bb.26:
	.loc	1 33 18 is_stmt 1               ; matmul.py:33:18
	v_lshl_add_u64 v[2:3], s[18:19], 2, v[6:7]
	.loc	1 30 20                         ; matmul.py:30:20
	global_load_dword v53, v[2:3], off
.LBB0_27:
	.loc	1 0 20 is_stmt 0                ; matmul.py:0:20
	s_or_b64 exec, exec, s[20:21]
	.loc	1 30 20                         ; matmul.py:30:20
	s_and_saveexec_b64 s[20:21], vcc
	s_cbranch_execz .LBB0_29
; %bb.28:
	.loc	1 33 18 is_stmt 1               ; matmul.py:33:18
	v_lshl_add_u64 v[2:3], s[18:19], 2, v[8:9]
	.loc	1 30 20                         ; matmul.py:30:20
	global_load_dword v52, v[2:3], off
.LBB0_29:
	.loc	1 0 20 is_stmt 0                ; matmul.py:0:20
	s_or_b64 exec, exec, s[20:21]
	v_lshlrev_b32_e32 v2, 6, v1
	v_lshl_or_b32 v2, s14, 4, v2
	v_bitop3_b32 v3, v42, v0, 12 bitop3:0x78
	v_or_b32_e32 v4, v2, v3
	v_bitop3_b32 v2, v2, 8, v3 bitop3:0x36
	.loc	1 30 20                         ; matmul.py:30:20
	v_add_u32_e32 v47, 0, v4
	v_add_u32_e32 v48, 0, v2
	s_waitcnt lgkmcnt(0)
	s_barrier
	ds_read2_b32 v[38:39], v47 offset1:4
	ds_read2_b32 v[36:37], v47 offset0:8 offset1:12
	ds_read2_b32 v[40:41], v48 offset1:4
	ds_read2_b32 v[34:35], v48 offset0:8 offset1:12
	.loc	1 34 33 is_stmt 1               ; matmul.py:34:33
	s_lshl_b32 s12, s13, 4
	s_ashr_i32 s13, s12, 31
	.loc	1 31 51                         ; matmul.py:31:51
	s_cmp_ge_u32 s25, s11
	.loc	1 31 20 is_stmt 0               ; matmul.py:31:20
	s_cbranch_scc1 .LBB0_35
; %bb.30:
	.loc	1 34 18 is_stmt 1               ; matmul.py:34:18
	v_lshl_add_u64 v[2:3], s[12:13], 2, v[10:11]
	.loc	1 31 20                         ; matmul.py:31:20
	global_load_dword v54, v[2:3], off
	.loc	1 31 51 is_stmt 0               ; matmul.py:31:51
	s_cmp_ge_u32 s26, s11
	.loc	1 31 20                         ; matmul.py:31:20
	s_cbranch_scc0 .LBB0_36
.LBB0_31:
	.loc	1 0 20                          ; matmul.py:0:20
	v_mov_b32_e32 v55, 0
	.loc	1 31 51                         ; matmul.py:31:51
	s_cmp_ge_u32 s27, s11
	.loc	1 31 20                         ; matmul.py:31:20
	s_cbranch_scc0 .LBB0_37
.LBB0_32:
	.loc	1 0 20                          ; matmul.py:0:20
	v_mov_b32_e32 v56, 0
	.loc	1 31 51                         ; matmul.py:31:51
	s_cmp_ge_u32 s28, s11
	.loc	1 31 20                         ; matmul.py:31:20
	s_cbranch_scc0 .LBB0_38
.LBB0_33:
	.loc	1 0 20                          ; matmul.py:0:20
	v_mov_b32_e32 v57, 0
	.loc	1 31 20                         ; matmul.py:31:20
	s_branch .LBB0_39
.LBB0_34:
	.loc	1 0 20                          ; matmul.py:0:20
	v_mov_b32_e32 v17, 0
	v_mov_b32_e32 v16, v17
	;; [unrolled: 1-line block ×16, first 2 shown]
	s_branch .LBB0_59
.LBB0_35:
	v_mov_b32_e32 v54, 0
	.loc	1 31 51                         ; matmul.py:31:51
	s_cmp_ge_u32 s26, s11
	.loc	1 31 20                         ; matmul.py:31:20
	s_cbranch_scc1 .LBB0_31
.LBB0_36:
	.loc	1 34 18 is_stmt 1               ; matmul.py:34:18
	v_lshl_add_u64 v[2:3], s[12:13], 2, v[12:13]
	.loc	1 31 20                         ; matmul.py:31:20
	global_load_dword v55, v[2:3], off
	.loc	1 31 51 is_stmt 0               ; matmul.py:31:51
	s_cmp_ge_u32 s27, s11
	.loc	1 31 20                         ; matmul.py:31:20
	s_cbranch_scc1 .LBB0_32
.LBB0_37:
	.loc	1 34 18 is_stmt 1               ; matmul.py:34:18
	v_lshl_add_u64 v[2:3], s[12:13], 2, v[14:15]
	.loc	1 31 20                         ; matmul.py:31:20
	global_load_dword v56, v[2:3], off
	.loc	1 31 51 is_stmt 0               ; matmul.py:31:51
	s_cmp_ge_u32 s28, s11
	.loc	1 31 20                         ; matmul.py:31:20
	s_cbranch_scc1 .LBB0_33
.LBB0_38:
	.loc	1 34 18 is_stmt 1               ; matmul.py:34:18
	v_lshl_add_u64 v[2:3], s[12:13], 2, v[16:17]
	.loc	1 31 20                         ; matmul.py:31:20
	global_load_dword v57, v[2:3], off
.LBB0_39:
	s_lshl1_add_u32 s11, s24, 0
	v_lshlrev_b32_e32 v2, 2, v1
	v_lshl_add_u32 v3, v44, 3, s11
	v_add_u32_e32 v49, v3, v2
	ds_read2st64_b32 v[58:59], v49 offset0:16 offset1:18
.Ltmp13:
	.loc	2 43 30                         ; standard.py:43:30 @[ matmul.py:29:33 ]
	s_ashr_i32 s11, s29, 31
	s_lshr_b32 s11, s11, 28
	s_add_i32 s29, s29, s11
	s_ashr_i32 s11, s29, 4
.Ltmp14:
	.loc	1 29 22                         ; matmul.py:29:22
	s_max_i32 s11, s11, 2
	s_cmp_eq_u32 s11, 2
	.loc	1 32 35                         ; matmul.py:32:35
	s_waitcnt lgkmcnt(0)
	v_mfma_f32_32x32x2_f32 v[2:17], v58, v38, 0
	v_mfma_f32_32x32x2_f32 v[2:17], v59, v40, v[2:17]
	.loc	1 31 20                         ; matmul.py:31:20
	ds_read2st64_b32 v[58:59], v49 offset0:20 offset1:22
	.loc	1 32 35                         ; matmul.py:32:35
	s_waitcnt lgkmcnt(0)
	v_mfma_f32_32x32x2_f32 v[2:17], v58, v39, v[2:17]
	.loc	1 31 20                         ; matmul.py:31:20
	ds_read2st64_b32 v[38:39], v49 offset0:24 offset1:26
	.loc	1 32 35                         ; matmul.py:32:35
	v_mfma_f32_32x32x2_f32 v[2:17], v59, v41, v[2:17]
	s_waitcnt lgkmcnt(0)
	v_mfma_f32_32x32x2_f32 v[2:17], v38, v36, v[2:17]
	v_mfma_f32_32x32x2_f32 v[2:17], v39, v34, v[2:17]
	.loc	1 31 20                         ; matmul.py:31:20
	ds_read2st64_b32 v[38:39], v49 offset0:28 offset1:30
	.loc	1 30 20                         ; matmul.py:30:20
	s_waitcnt lgkmcnt(0)
	s_barrier
	s_waitcnt vmcnt(0)
	ds_write2st64_b32 v45, v51, v50 offset1:4
	ds_write2st64_b32 v45, v53, v52 offset0:8 offset1:12
	.loc	1 31 20                         ; matmul.py:31:20
	ds_write2st64_b32 v46, v54, v55 offset0:16 offset1:20
	ds_write2st64_b32 v46, v56, v57 offset0:24 offset1:28
	.loc	1 32 35                         ; matmul.py:32:35
	v_mfma_f32_32x32x2_f32 v[2:17], v38, v37, v[2:17]
	v_mfma_f32_32x32x2_f32 v[2:17], v39, v35, v[2:17]
	.loc	1 29 22                         ; matmul.py:29:22
	s_cbranch_scc1 .LBB0_59
; %bb.40:                               ; %.peel.next
	s_lshl_b64 s[20:21], s[12:13], 3
	s_add_u32 s4, s4, s20
	s_addc_u32 s5, s5, s21
	s_lshl_b64 s[12:13], s[12:13], 2
	s_lshl_b64 s[20:21], s[18:19], 3
	s_add_u32 s2, s2, s20
	v_lshlrev_b64 v[30:31], 2, v[30:31]
	v_lshlrev_b64 v[32:33], 2, v[32:33]
	;; [unrolled: 1-line block ×5, first 2 shown]
	s_addc_u32 s3, s3, s21
	s_lshl_b64 s[18:19], s[18:19], 2
	v_lshlrev_b64 v[22:23], 2, v[22:23]
	v_lshlrev_b64 v[20:21], 2, v[20:21]
	;; [unrolled: 1-line block ×3, first 2 shown]
	s_add_i32 s20, s11, -2
	s_sub_i32 s21, s10, 32
	s_branch .LBB0_43
.LBB0_41:                               ;   in Loop: Header=BB0_43 Depth=1
	.loc	1 29 22                         ; matmul.py:29:22
	v_lshl_add_u64 v[58:59], s[4:5], 0, v[30:31]
	.loc	1 31 20                         ; matmul.py:31:20
	global_load_dword v57, v[58:59], off
.LBB0_42:                               ;   in Loop: Header=BB0_43 Depth=1
	ds_read2st64_b32 v[58:59], v49 offset0:16 offset1:18
	.loc	1 29 22                         ; matmul.py:29:22
	s_add_u32 s4, s4, s12
	s_addc_u32 s5, s5, s13
	s_add_u32 s2, s2, s18
	s_addc_u32 s3, s3, s19
	s_add_i32 s20, s20, -1
	s_add_i32 s21, s21, -16
	s_cmp_lg_u32 s20, 0
	.loc	1 32 35                         ; matmul.py:32:35
	s_waitcnt lgkmcnt(0)
	v_mfma_f32_32x32x2_f32 v[2:17], v58, v38, v[2:17]
	v_mfma_f32_32x32x2_f32 v[2:17], v59, v40, v[2:17]
	.loc	1 31 20                         ; matmul.py:31:20
	ds_read2st64_b32 v[58:59], v49 offset0:20 offset1:22
	.loc	1 32 35                         ; matmul.py:32:35
	s_waitcnt lgkmcnt(0)
	v_mfma_f32_32x32x2_f32 v[2:17], v58, v39, v[2:17]
	.loc	1 31 20                         ; matmul.py:31:20
	ds_read2st64_b32 v[38:39], v49 offset0:24 offset1:26
	.loc	1 32 35                         ; matmul.py:32:35
	v_mfma_f32_32x32x2_f32 v[2:17], v59, v41, v[2:17]
	s_waitcnt lgkmcnt(0)
	v_mfma_f32_32x32x2_f32 v[2:17], v38, v36, v[2:17]
	v_mfma_f32_32x32x2_f32 v[2:17], v39, v34, v[2:17]
	.loc	1 31 20                         ; matmul.py:31:20
	ds_read2st64_b32 v[38:39], v49 offset0:28 offset1:30
	.loc	1 30 20                         ; matmul.py:30:20
	s_waitcnt lgkmcnt(0)
	s_barrier
	s_waitcnt vmcnt(0)
	ds_write2st64_b32 v45, v51, v50 offset1:4
	ds_write2st64_b32 v45, v53, v52 offset0:8 offset1:12
	.loc	1 31 20                         ; matmul.py:31:20
	ds_write2st64_b32 v46, v54, v55 offset0:16 offset1:20
	ds_write2st64_b32 v46, v56, v57 offset0:24 offset1:28
	.loc	1 32 35                         ; matmul.py:32:35
	v_mfma_f32_32x32x2_f32 v[2:17], v38, v37, v[2:17]
	v_mfma_f32_32x32x2_f32 v[2:17], v39, v35, v[2:17]
	.loc	1 29 22                         ; matmul.py:29:22
	s_cbranch_scc0 .LBB0_59
.LBB0_43:                               ; =>This Inner Loop Header: Depth=1
	.loc	1 30 51                         ; matmul.py:30:51
	v_cmp_gt_i32_e32 vcc, s21, v43
	v_mov_b32_e32 v50, 0
	v_mov_b32_e32 v51, 0
	.loc	1 30 20 is_stmt 0               ; matmul.py:30:20
	s_and_saveexec_b64 s[10:11], vcc
	s_cbranch_execz .LBB0_45
; %bb.44:                               ;   in Loop: Header=BB0_43 Depth=1
	.loc	1 33 18 is_stmt 1               ; matmul.py:33:18
	v_lshl_add_u64 v[34:35], s[2:3], 0, v[18:19]
	.loc	1 30 20                         ; matmul.py:30:20
	global_load_dword v51, v[34:35], off
.LBB0_45:                               ;   in Loop: Header=BB0_43 Depth=1
	.loc	1 0 20 is_stmt 0                ; matmul.py:0:20
	s_or_b64 exec, exec, s[10:11]
	.loc	1 30 20                         ; matmul.py:30:20
	s_and_saveexec_b64 s[10:11], vcc
	s_cbranch_execz .LBB0_47
; %bb.46:                               ;   in Loop: Header=BB0_43 Depth=1
	.loc	1 33 18 is_stmt 1               ; matmul.py:33:18
	v_lshl_add_u64 v[34:35], s[2:3], 0, v[20:21]
	.loc	1 30 20                         ; matmul.py:30:20
	global_load_dword v50, v[34:35], off
.LBB0_47:                               ;   in Loop: Header=BB0_43 Depth=1
	.loc	1 0 20 is_stmt 0                ; matmul.py:0:20
	s_or_b64 exec, exec, s[10:11]
	v_mov_b32_e32 v52, 0
	v_mov_b32_e32 v53, 0
	.loc	1 30 20                         ; matmul.py:30:20
	s_and_saveexec_b64 s[10:11], vcc
	s_cbranch_execz .LBB0_49
; %bb.48:                               ;   in Loop: Header=BB0_43 Depth=1
	.loc	1 33 18 is_stmt 1               ; matmul.py:33:18
	v_lshl_add_u64 v[34:35], s[2:3], 0, v[22:23]
	.loc	1 30 20                         ; matmul.py:30:20
	global_load_dword v53, v[34:35], off
.LBB0_49:                               ;   in Loop: Header=BB0_43 Depth=1
	.loc	1 0 20 is_stmt 0                ; matmul.py:0:20
	s_or_b64 exec, exec, s[10:11]
	.loc	1 30 20                         ; matmul.py:30:20
	s_and_saveexec_b64 s[10:11], vcc
	s_cbranch_execz .LBB0_51
; %bb.50:                               ;   in Loop: Header=BB0_43 Depth=1
	.loc	1 34 18 is_stmt 1               ; matmul.py:34:18
	v_lshl_add_u64 v[34:35], s[2:3], 0, v[24:25]
	.loc	1 30 20                         ; matmul.py:30:20
	global_load_dword v52, v[34:35], off
.LBB0_51:                               ;   in Loop: Header=BB0_43 Depth=1
	.loc	1 0 20 is_stmt 0                ; matmul.py:0:20
	s_or_b64 exec, exec, s[10:11]
	.loc	1 30 20                         ; matmul.py:30:20
	s_waitcnt lgkmcnt(0)
	s_barrier
	ds_read2_b32 v[38:39], v47 offset1:4
	ds_read2_b32 v[36:37], v47 offset0:8 offset1:12
	ds_read2_b32 v[40:41], v48 offset1:4
	ds_read2_b32 v[34:35], v48 offset0:8 offset1:12
	.loc	1 31 51 is_stmt 1               ; matmul.py:31:51
	s_cmp_ge_i32 s25, s21
	.loc	1 31 20 is_stmt 0               ; matmul.py:31:20
	s_cbranch_scc1 .LBB0_55
; %bb.52:                               ;   in Loop: Header=BB0_43 Depth=1
	.loc	1 34 18 is_stmt 1               ; matmul.py:34:18
	v_lshl_add_u64 v[54:55], s[4:5], 0, v[26:27]
	.loc	1 31 20                         ; matmul.py:31:20
	global_load_dword v54, v[54:55], off
	.loc	1 31 51 is_stmt 0               ; matmul.py:31:51
	s_cmp_ge_i32 s26, s21
	.loc	1 31 20                         ; matmul.py:31:20
	s_cbranch_scc0 .LBB0_56
.LBB0_53:                               ;   in Loop: Header=BB0_43 Depth=1
	.loc	1 0 20                          ; matmul.py:0:20
	v_mov_b32_e32 v55, 0
	.loc	1 31 51                         ; matmul.py:31:51
	s_cmp_ge_i32 s27, s21
	.loc	1 31 20                         ; matmul.py:31:20
	s_cbranch_scc0 .LBB0_57
.LBB0_54:                               ;   in Loop: Header=BB0_43 Depth=1
	.loc	1 0 20                          ; matmul.py:0:20
	v_mov_b32_e32 v56, 0
	.loc	1 31 51                         ; matmul.py:31:51
	s_cmp_ge_i32 s28, s21
	.loc	1 31 20                         ; matmul.py:31:20
	s_cbranch_scc0 .LBB0_41
	s_branch .LBB0_58
.LBB0_55:                               ;   in Loop: Header=BB0_43 Depth=1
	.loc	1 0 20                          ; matmul.py:0:20
	v_mov_b32_e32 v54, 0
	.loc	1 31 51                         ; matmul.py:31:51
	s_cmp_ge_i32 s26, s21
	.loc	1 31 20                         ; matmul.py:31:20
	s_cbranch_scc1 .LBB0_53
.LBB0_56:                               ;   in Loop: Header=BB0_43 Depth=1
	.loc	1 34 18 is_stmt 1               ; matmul.py:34:18
	v_lshl_add_u64 v[56:57], s[4:5], 0, v[28:29]
	.loc	1 31 20                         ; matmul.py:31:20
	global_load_dword v55, v[56:57], off
	.loc	1 31 51 is_stmt 0               ; matmul.py:31:51
	s_cmp_ge_i32 s27, s21
	.loc	1 31 20                         ; matmul.py:31:20
	s_cbranch_scc1 .LBB0_54
.LBB0_57:                               ;   in Loop: Header=BB0_43 Depth=1
	.loc	1 34 18 is_stmt 1               ; matmul.py:34:18
	v_lshl_add_u64 v[56:57], s[4:5], 0, v[32:33]
	.loc	1 31 20                         ; matmul.py:31:20
	global_load_dword v56, v[56:57], off
	.loc	1 31 51 is_stmt 0               ; matmul.py:31:51
	s_cmp_ge_i32 s28, s21
	.loc	1 31 20                         ; matmul.py:31:20
	s_cbranch_scc0 .LBB0_41
.LBB0_58:                               ;   in Loop: Header=BB0_43 Depth=1
	.loc	1 0 20                          ; matmul.py:0:20
	v_mov_b32_e32 v57, 0
	.loc	1 31 20                         ; matmul.py:31:20
	s_branch .LBB0_42
.LBB0_59:                               ; %Flow105
	.loc	1 0 20                          ; matmul.py:0:20
	s_load_dword s2, s[0:1], 0x38
	.loc	1 32 35 is_stmt 1               ; matmul.py:32:35
	s_andn2_b64 vcc, exec, s[16:17]
	.loc	1 30 20                         ; matmul.py:30:20
	s_waitcnt lgkmcnt(0)
	s_barrier
	s_cbranch_vccnz .LBB0_61
; %bb.60:
	.loc	1 31 20                         ; matmul.py:31:20
	s_lshl1_add_u32 s0, s24, 0
	v_lshl_add_u32 v18, v44, 3, s0
	v_lshl_add_u32 v24, v1, 2, v18
	ds_read2st64_b32 v[18:19], v24 offset0:16 offset1:18
	.loc	1 30 20                         ; matmul.py:30:20
	v_lshlrev_b32_e32 v20, 6, v1
	s_lshl_b32 s0, s14, 4
	v_bitop3_b32 v0, v42, v0, 12 bitop3:0x78
	v_or3_b32 v0, s0, v20, v0
	v_add_u32_e32 v25, 0, v0
	ds_read2_b32 v[20:21], v25 offset1:4
	v_xad_u32 v0, v0, 8, 0
	ds_read2_b32 v[22:23], v0 offset1:4
	.loc	1 32 35                         ; matmul.py:32:35
	s_waitcnt lgkmcnt(1)
	v_mfma_f32_32x32x2_f32 v[2:17], v18, v20, v[2:17]
	s_waitcnt lgkmcnt(0)
	v_mfma_f32_32x32x2_f32 v[2:17], v19, v22, v[2:17]
	.loc	1 31 20                         ; matmul.py:31:20
	ds_read2st64_b32 v[18:19], v24 offset0:20 offset1:22
	.loc	1 32 35                         ; matmul.py:32:35
	s_waitcnt lgkmcnt(0)
	v_mfma_f32_32x32x2_f32 v[2:17], v18, v21, v[2:17]
	v_mfma_f32_32x32x2_f32 v[2:17], v19, v23, v[2:17]
	.loc	1 31 20                         ; matmul.py:31:20
	ds_read2st64_b32 v[18:19], v24 offset0:24 offset1:26
	.loc	1 30 20                         ; matmul.py:30:20
	ds_read2_b32 v[20:21], v25 offset0:8 offset1:12
	ds_read2_b32 v[22:23], v0 offset0:8 offset1:12
	.loc	1 32 35                         ; matmul.py:32:35
	s_waitcnt lgkmcnt(1)
	v_mfma_f32_32x32x2_f32 v[2:17], v18, v20, v[2:17]
	s_waitcnt lgkmcnt(0)
	v_mfma_f32_32x32x2_f32 v[2:17], v19, v22, v[2:17]
	.loc	1 31 20                         ; matmul.py:31:20
	ds_read2st64_b32 v[18:19], v24 offset0:28 offset1:30
	.loc	1 32 35                         ; matmul.py:32:35
	s_waitcnt lgkmcnt(0)
	v_mfma_f32_32x32x2_f32 v[2:17], v18, v21, v[2:17]
	v_mfma_f32_32x32x2_f32 v[2:17], v19, v23, v[2:17]
.LBB0_61:                               ; %._crit_edge._crit_edge
	.loc	1 22 51                         ; matmul.py:22:51
	s_lshr_b32 s0, s14, 2
	v_or_b32_e32 v0, s0, v1
	s_lshr_b32 s0, s24, 1
	v_or_b32_e32 v1, s0, v42
	.loc	1 22 38 is_stmt 0               ; matmul.py:22:38
	v_or_b32_e32 v19, s22, v0
	.loc	1 23 38 is_stmt 1               ; matmul.py:23:38
	v_or_b32_e32 v18, s23, v1
	.loc	1 39 33                         ; matmul.py:39:33
	v_mul_lo_u32 v0, v19, s15
	.loc	1 39 21 is_stmt 0               ; matmul.py:39:21
	v_ashrrev_i32_e32 v1, 31, v0
	.loc	1 40 33 is_stmt 1               ; matmul.py:40:33
	v_cmp_gt_i32_e32 vcc, s8, v19
	.loc	1 40 58 is_stmt 0               ; matmul.py:40:58
	v_cmp_gt_i32_e64 s[0:1], s9, v18
	.loc	1 39 21 is_stmt 1               ; matmul.py:39:21
	v_lshl_add_u64 v[0:1], v[0:1], 2, s[6:7]
	.loc	1 40 39                         ; matmul.py:40:39
	s_and_b64 s[4:5], vcc, s[0:1]
	.loc	1 41 21                         ; matmul.py:41:21
	s_and_saveexec_b64 s[0:1], s[4:5]
	s_cbranch_execz .LBB0_63
; %bb.62:
	.loc	1 0 21 is_stmt 0                ; matmul.py:0:21
	v_mul_lo_u32 v20, v18, s2
	v_ashrrev_i32_e32 v21, 31, v20
	v_lshl_add_u64 v[20:21], v[20:21], 2, v[0:1]
	.loc	1 41 21                         ; matmul.py:41:21
	s_nop 0
	global_store_dword v[20:21], v2, off
.LBB0_63:
	.loc	1 0 21                          ; matmul.py:0:21
	s_or_b64 exec, exec, s[0:1]
	.loc	1 23 38 is_stmt 1               ; matmul.py:23:38
	s_nop 2
	v_or_b32_e32 v2, 1, v18
	.loc	1 40 58                         ; matmul.py:40:58
	v_cmp_gt_i32_e64 s[0:1], s9, v2
	.loc	1 40 39 is_stmt 0               ; matmul.py:40:39
	s_and_b64 s[4:5], s[0:1], vcc
	.loc	1 41 21 is_stmt 1               ; matmul.py:41:21
	s_and_saveexec_b64 s[0:1], s[4:5]
	s_cbranch_execz .LBB0_65
; %bb.64:
	.loc	1 39 64                         ; matmul.py:39:64
	v_mul_lo_u32 v20, v2, s2
	.loc	1 39 52 is_stmt 0               ; matmul.py:39:52
	v_ashrrev_i32_e32 v21, 31, v20
	v_lshl_add_u64 v[20:21], v[20:21], 2, v[0:1]
	.loc	1 41 21 is_stmt 1               ; matmul.py:41:21
	global_store_dword v[20:21], v3, off
.LBB0_65:
	.loc	1 0 21 is_stmt 0                ; matmul.py:0:21
	s_or_b64 exec, exec, s[0:1]
	.loc	1 23 38 is_stmt 1               ; matmul.py:23:38
	v_or_b32_e32 v2, 2, v18
	.loc	1 40 58                         ; matmul.py:40:58
	v_cmp_gt_i32_e64 s[0:1], s9, v2
	.loc	1 40 39 is_stmt 0               ; matmul.py:40:39
	s_and_b64 s[4:5], s[0:1], vcc
	.loc	1 41 21 is_stmt 1               ; matmul.py:41:21
	s_and_saveexec_b64 s[0:1], s[4:5]
	s_cbranch_execz .LBB0_67
; %bb.66:
	.loc	1 39 64                         ; matmul.py:39:64
	v_mul_lo_u32 v2, v2, s2
	.loc	1 39 52 is_stmt 0               ; matmul.py:39:52
	v_ashrrev_i32_e32 v3, 31, v2
	v_lshl_add_u64 v[2:3], v[2:3], 2, v[0:1]
	.loc	1 41 21 is_stmt 1               ; matmul.py:41:21
	global_store_dword v[2:3], v4, off
.LBB0_67:
	.loc	1 0 21 is_stmt 0                ; matmul.py:0:21
	s_or_b64 exec, exec, s[0:1]
	.loc	1 23 38 is_stmt 1               ; matmul.py:23:38
	;; [unrolled: 20-line block ×14, first 2 shown]
	v_or_b32_e32 v2, 27, v18
	.loc	1 40 58                         ; matmul.py:40:58
	v_cmp_gt_i32_e64 s[0:1], s9, v2
	.loc	1 40 39 is_stmt 0               ; matmul.py:40:39
	s_and_b64 s[0:1], s[0:1], vcc
	.loc	1 41 21 is_stmt 1               ; matmul.py:41:21
	s_and_saveexec_b64 s[4:5], s[0:1]
	s_cbranch_execz .LBB0_93
; %bb.92:
	.loc	1 39 64                         ; matmul.py:39:64
	v_mul_lo_u32 v2, v2, s2
	.loc	1 39 52 is_stmt 0               ; matmul.py:39:52
	v_ashrrev_i32_e32 v3, 31, v2
	v_lshl_add_u64 v[0:1], v[2:3], 2, v[0:1]
	.loc	1 41 21 is_stmt 1               ; matmul.py:41:21
	global_store_dword v[0:1], v17, off
.LBB0_93:
	.loc	1 41 4 is_stmt 0                ; matmul.py:41:4
	s_endpgm
.Ltmp15:
	.section	.rodata,"a",@progbits
	.p2align	6, 0x0
	.amdhsa_kernel matmul_kernel
		.amdhsa_group_segment_fixed_size 0
		.amdhsa_private_segment_fixed_size 0
		.amdhsa_kernarg_size 80
		.amdhsa_user_sgpr_count 16
		.amdhsa_user_sgpr_dispatch_ptr 0
		.amdhsa_user_sgpr_queue_ptr 0
		.amdhsa_user_sgpr_kernarg_segment_ptr 1
		.amdhsa_user_sgpr_dispatch_id 0
		.amdhsa_user_sgpr_kernarg_preload_length 14
		.amdhsa_user_sgpr_kernarg_preload_offset 0
		.amdhsa_user_sgpr_private_segment_size 0
		.amdhsa_uses_dynamic_stack 0
		.amdhsa_enable_private_segment 0
		.amdhsa_system_sgpr_workgroup_id_x 1
		.amdhsa_system_sgpr_workgroup_id_y 0
		.amdhsa_system_sgpr_workgroup_id_z 0
		.amdhsa_system_sgpr_workgroup_info 0
		.amdhsa_system_vgpr_workitem_id 0
		.amdhsa_next_free_vgpr 60
		.amdhsa_next_free_sgpr 31
		.amdhsa_accum_offset 60
		.amdhsa_reserve_vcc 1
		.amdhsa_reserve_xnack_mask 1
		.amdhsa_float_round_mode_32 0
		.amdhsa_float_round_mode_16_64 0
		.amdhsa_float_denorm_mode_32 3
		.amdhsa_float_denorm_mode_16_64 3
		.amdhsa_dx10_clamp 1
		.amdhsa_ieee_mode 1
		.amdhsa_fp16_overflow 0
		.amdhsa_tg_split 0
		.amdhsa_exception_fp_ieee_invalid_op 0
		.amdhsa_exception_fp_denorm_src 0
		.amdhsa_exception_fp_ieee_div_zero 0
		.amdhsa_exception_fp_ieee_overflow 0
		.amdhsa_exception_fp_ieee_underflow 0
		.amdhsa_exception_fp_ieee_inexact 0
		.amdhsa_exception_int_div_zero 0
	.end_amdhsa_kernel
	.text
.Lfunc_end0:
	.size	matmul_kernel, .Lfunc_end0-matmul_kernel
	.cfi_endproc
                                        ; -- End function
	.set matmul_kernel.num_vgpr, 60
	.set matmul_kernel.num_agpr, 0
	.set matmul_kernel.numbered_sgpr, 31
	.set matmul_kernel.num_named_barrier, 0
	.set matmul_kernel.private_seg_size, 0
	.set matmul_kernel.uses_vcc, 1
	.set matmul_kernel.uses_flat_scratch, 0
	.set matmul_kernel.has_dyn_sized_stack, 0
	.set matmul_kernel.has_recursion, 0
	.set matmul_kernel.has_indirect_call, 0
	.section	.AMDGPU.csdata,"",@progbits
; Kernel info:
; codeLenInByte = 3996
; TotalNumSgprs: 37
; NumVgprs: 60
; NumAgprs: 0
; TotalNumVgprs: 60
; ScratchSize: 0
; MemoryBound: 0
; FloatMode: 240
; IeeeMode: 1
; LDSByteSize: 0 bytes/workgroup (compile time only)
; SGPRBlocks: 4
; VGPRBlocks: 7
; NumSGPRsForWavesPerEU: 37
; NumVGPRsForWavesPerEU: 60
; AccumOffset: 60
; Occupancy: 8
; WaveLimiterHint : 0
; COMPUTE_PGM_RSRC2:SCRATCH_EN: 0
; COMPUTE_PGM_RSRC2:USER_SGPR: 16
; COMPUTE_PGM_RSRC2:TRAP_HANDLER: 0
; COMPUTE_PGM_RSRC2:TGID_X_EN: 1
; COMPUTE_PGM_RSRC2:TGID_Y_EN: 0
; COMPUTE_PGM_RSRC2:TGID_Z_EN: 0
; COMPUTE_PGM_RSRC2:TIDIG_COMP_CNT: 0
; COMPUTE_PGM_RSRC3_GFX90A:ACCUM_OFFSET: 14
; COMPUTE_PGM_RSRC3_GFX90A:TG_SPLIT: 0
	.text
	.p2alignl 6, 3212836864
	.fill 256, 4, 3212836864
	.section	.AMDGPU.gpr_maximums,"",@progbits
	.set amdgpu.max_num_vgpr, 0
	.set amdgpu.max_num_agpr, 0
	.set amdgpu.max_num_sgpr, 0
	.set amdgpu.max_num_named_barrier, 0
	.text
	.section	.debug_abbrev,"",@progbits
	.byte	1                               ; Abbreviation Code
	.byte	17                              ; DW_TAG_compile_unit
	.byte	1                               ; DW_CHILDREN_yes
	.byte	37                              ; DW_AT_producer
	.byte	14                              ; DW_FORM_strp
	.byte	19                              ; DW_AT_language
	.byte	5                               ; DW_FORM_data2
	.byte	3                               ; DW_AT_name
	.byte	14                              ; DW_FORM_strp
	.byte	16                              ; DW_AT_stmt_list
	.byte	23                              ; DW_FORM_sec_offset
	.byte	27                              ; DW_AT_comp_dir
	.byte	14                              ; DW_FORM_strp
	.byte	17                              ; DW_AT_low_pc
	.byte	1                               ; DW_FORM_addr
	.byte	18                              ; DW_AT_high_pc
	.byte	6                               ; DW_FORM_data4
	.byte	0                               ; EOM(1)
	.byte	0                               ; EOM(2)
	.byte	2                               ; Abbreviation Code
	.byte	46                              ; DW_TAG_subprogram
	.byte	0                               ; DW_CHILDREN_no
	.byte	3                               ; DW_AT_name
	.byte	14                              ; DW_FORM_strp
	.byte	32                              ; DW_AT_inline
	.byte	11                              ; DW_FORM_data1
	.byte	0                               ; EOM(1)
	.byte	0                               ; EOM(2)
	.byte	3                               ; Abbreviation Code
	.byte	46                              ; DW_TAG_subprogram
	.byte	1                               ; DW_CHILDREN_yes
	.byte	17                              ; DW_AT_low_pc
	.byte	1                               ; DW_FORM_addr
	.byte	18                              ; DW_AT_high_pc
	.byte	6                               ; DW_FORM_data4
	.byte	49                              ; DW_AT_abstract_origin
	.byte	19                              ; DW_FORM_ref4
	.byte	0                               ; EOM(1)
	.byte	0                               ; EOM(2)
	.byte	4                               ; Abbreviation Code
	.byte	29                              ; DW_TAG_inlined_subroutine
	.byte	0                               ; DW_CHILDREN_no
	.byte	49                              ; DW_AT_abstract_origin
	.byte	19                              ; DW_FORM_ref4
	.byte	17                              ; DW_AT_low_pc
	.byte	1                               ; DW_FORM_addr
	.byte	18                              ; DW_AT_high_pc
	.byte	6                               ; DW_FORM_data4
	.byte	88                              ; DW_AT_call_file
	.byte	11                              ; DW_FORM_data1
	.byte	89                              ; DW_AT_call_line
	.byte	11                              ; DW_FORM_data1
	.byte	87                              ; DW_AT_call_column
	.byte	11                              ; DW_FORM_data1
	.byte	0                               ; EOM(1)
	.byte	0                               ; EOM(2)
	.byte	5                               ; Abbreviation Code
	.byte	29                              ; DW_TAG_inlined_subroutine
	.byte	0                               ; DW_CHILDREN_no
	.byte	49                              ; DW_AT_abstract_origin
	.byte	19                              ; DW_FORM_ref4
	.byte	85                              ; DW_AT_ranges
	.byte	23                              ; DW_FORM_sec_offset
	.byte	88                              ; DW_AT_call_file
	.byte	11                              ; DW_FORM_data1
	.byte	89                              ; DW_AT_call_line
	.byte	11                              ; DW_FORM_data1
	.byte	87                              ; DW_AT_call_column
	.byte	11                              ; DW_FORM_data1
	.byte	0                               ; EOM(1)
	.byte	0                               ; EOM(2)
	;; [unrolled: 1-line block ×3, first 2 shown]
	.section	.debug_info,"",@progbits
.Lcu_begin0:
	.long	.Ldebug_info_end0-.Ldebug_info_start0 ; Length of Unit
.Ldebug_info_start0:
	.short	4                               ; DWARF version number
	.long	.debug_abbrev                   ; Offset Into Abbrev. Section
	.byte	8                               ; Address Size (in bytes)
	.byte	1                               ; Abbrev [1] 0xb:0x64 DW_TAG_compile_unit
	.long	.Linfo_string0                  ; DW_AT_producer
	.short	2                               ; DW_AT_language
	.long	.Linfo_string1                  ; DW_AT_name
	.long	.Lline_table_start0             ; DW_AT_stmt_list
	.long	.Linfo_string2                  ; DW_AT_comp_dir
	.quad	.Lfunc_begin0                   ; DW_AT_low_pc
	.long	.Lfunc_end0-.Lfunc_begin0       ; DW_AT_high_pc
	.byte	2                               ; Abbrev [2] 0x2a:0x6 DW_TAG_subprogram
	.long	.Linfo_string3                  ; DW_AT_name
	.byte	1                               ; DW_AT_inline
	.byte	3                               ; Abbrev [3] 0x30:0x3e DW_TAG_subprogram
	.quad	.Lfunc_begin0                   ; DW_AT_low_pc
	.long	.Lfunc_end0-.Lfunc_begin0       ; DW_AT_high_pc
	.long	42                              ; DW_AT_abstract_origin
	.byte	4                               ; Abbrev [4] 0x41:0x14 DW_TAG_inlined_subroutine
	.long	42                              ; DW_AT_abstract_origin
	.quad	.Ltmp1                          ; DW_AT_low_pc
	.long	.Ltmp2-.Ltmp1                   ; DW_AT_high_pc
	.byte	1                               ; DW_AT_call_file
	.byte	14                              ; DW_AT_call_line
	.byte	27                              ; DW_AT_call_column
	.byte	5                               ; Abbrev [5] 0x55:0xc DW_TAG_inlined_subroutine
	.long	42                              ; DW_AT_abstract_origin
	.long	.Ldebug_ranges0                 ; DW_AT_ranges
	.byte	1                               ; DW_AT_call_file
	.byte	13                              ; DW_AT_call_line
	.byte	27                              ; DW_AT_call_column
	.byte	5                               ; Abbrev [5] 0x61:0xc DW_TAG_inlined_subroutine
	.long	42                              ; DW_AT_abstract_origin
	.long	.Ldebug_ranges1                 ; DW_AT_ranges
	.byte	1                               ; DW_AT_call_file
	.byte	29                              ; DW_AT_call_line
	.byte	33                              ; DW_AT_call_column
	.byte	0                               ; End Of Children Mark
	.byte	0                               ; End Of Children Mark
.Ldebug_info_end0:
	.section	.debug_ranges,"",@progbits
.Ldebug_ranges0:
	.quad	.Ltmp3-.Lfunc_begin0
	.quad	.Ltmp4-.Lfunc_begin0
	;; [unrolled: 1-line block ×8, first 2 shown]
	.quad	0
	.quad	0
.Ldebug_ranges1:
	.quad	.Ltmp11-.Lfunc_begin0
	.quad	.Ltmp12-.Lfunc_begin0
	;; [unrolled: 1-line block ×4, first 2 shown]
	.quad	0
	.quad	0
	.section	.debug_str,"MS",@progbits,1
.Linfo_string0:
	.asciz	"triton"                        ; string offset=0
.Linfo_string1:
	.asciz	"matmul.py"                     ; string offset=7
.Linfo_string2:
	.asciz	"/root/src/amdgpu-assembly/repos/triton-lang__triton-aot" ; string offset=17
.Linfo_string3:
	.asciz	"matmul_kernel"                 ; string offset=73
	.section	".note.GNU-stack","",@progbits
	.amdgpu_metadata
---
amdhsa.kernels:
  - .agpr_count:     0
    .args:
      - .address_space:  global
        .offset:         0
        .size:           8
        .value_kind:     global_buffer
      - .address_space:  global
        .offset:         8
        .size:           8
        .value_kind:     global_buffer
      - .address_space:  global
        .offset:         16
        .size:           8
        .value_kind:     global_buffer
      - .offset:         24
        .size:           4
        .value_kind:     by_value
      - .offset:         28
        .size:           4
        .value_kind:     by_value
      - .offset:         32
        .size:           4
        .value_kind:     by_value
      - .offset:         36
        .size:           4
        .value_kind:     by_value
      - .offset:         40
        .size:           4
        .value_kind:     by_value
      - .offset:         44
        .size:           4
        .value_kind:     by_value
      - .offset:         48
        .size:           4
        .value_kind:     by_value
      - .offset:         52
        .size:           4
        .value_kind:     by_value
      - .offset:         56
        .size:           4
        .value_kind:     by_value
      - .address_space:  global
        .offset:         64
        .size:           8
        .value_kind:     global_buffer
      - .address_space:  global
        .offset:         72
        .size:           8
        .value_kind:     global_buffer
    .group_segment_fixed_size: 0
    .kernarg_segment_align: 8
    .kernarg_segment_size: 80
    .max_flat_workgroup_size: 256
    .name:           matmul_kernel
    .private_segment_fixed_size: 0
    .sgpr_count:     37
    .sgpr_spill_count: 0
    .symbol:         matmul_kernel.kd
    .uniform_work_group_size: 1
    .uses_dynamic_stack: false
    .vgpr_count:     60
    .vgpr_spill_count: 0
    .wavefront_size: 64
amdhsa.target:   amdgcn-amd-amdhsa--gfx950
amdhsa.version:
  - 1
  - 2
...

	.end_amdgpu_metadata
	.section	.debug_line,"",@progbits
.Lline_table_start0:
